;; amdgpu-corpus repo=ROCm/rocFFT kind=compiled arch=gfx906 opt=O3
	.text
	.amdgcn_target "amdgcn-amd-amdhsa--gfx906"
	.amdhsa_code_object_version 6
	.protected	fft_rtc_fwd_len528_factors_4_4_3_11_wgs_48_tpt_48_halfLds_sp_op_CI_CI_unitstride_sbrr_dirReg ; -- Begin function fft_rtc_fwd_len528_factors_4_4_3_11_wgs_48_tpt_48_halfLds_sp_op_CI_CI_unitstride_sbrr_dirReg
	.globl	fft_rtc_fwd_len528_factors_4_4_3_11_wgs_48_tpt_48_halfLds_sp_op_CI_CI_unitstride_sbrr_dirReg
	.p2align	8
	.type	fft_rtc_fwd_len528_factors_4_4_3_11_wgs_48_tpt_48_halfLds_sp_op_CI_CI_unitstride_sbrr_dirReg,@function
fft_rtc_fwd_len528_factors_4_4_3_11_wgs_48_tpt_48_halfLds_sp_op_CI_CI_unitstride_sbrr_dirReg: ; @fft_rtc_fwd_len528_factors_4_4_3_11_wgs_48_tpt_48_halfLds_sp_op_CI_CI_unitstride_sbrr_dirReg
; %bb.0:
	s_load_dwordx4 s[8:11], s[4:5], 0x58
	s_load_dwordx4 s[12:15], s[4:5], 0x0
	;; [unrolled: 1-line block ×3, first 2 shown]
	v_mul_u32_u24_e32 v1, 0x556, v0
	v_add_u32_sdwa v9, s6, v1 dst_sel:DWORD dst_unused:UNUSED_PAD src0_sel:DWORD src1_sel:WORD_1
	v_mov_b32_e32 v6, 0
	s_waitcnt lgkmcnt(0)
	v_cmp_lt_u64_e64 s[0:1], s[14:15], 2
	v_mov_b32_e32 v1, 0
	v_mov_b32_e32 v10, v6
	s_and_b64 vcc, exec, s[0:1]
	v_mov_b32_e32 v2, 0
	s_cbranch_vccnz .LBB0_8
; %bb.1:
	s_load_dwordx2 s[0:1], s[4:5], 0x10
	s_add_u32 s2, s18, 8
	s_addc_u32 s3, s19, 0
	s_add_u32 s6, s16, 8
	v_mov_b32_e32 v1, 0
	s_addc_u32 s7, s17, 0
	v_mov_b32_e32 v2, 0
	s_waitcnt lgkmcnt(0)
	s_add_u32 s20, s0, 8
	v_mov_b32_e32 v5, v2
	s_addc_u32 s21, s1, 0
	s_mov_b64 s[22:23], 1
	v_mov_b32_e32 v4, v1
.LBB0_2:                                ; =>This Inner Loop Header: Depth=1
	s_load_dwordx2 s[24:25], s[20:21], 0x0
	s_waitcnt lgkmcnt(0)
	v_or_b32_e32 v7, s25, v10
	v_cmp_ne_u64_e32 vcc, 0, v[6:7]
                                        ; implicit-def: $vgpr7_vgpr8
	s_and_saveexec_b64 s[0:1], vcc
	s_xor_b64 s[26:27], exec, s[0:1]
	s_cbranch_execz .LBB0_4
; %bb.3:                                ;   in Loop: Header=BB0_2 Depth=1
	v_cvt_f32_u32_e32 v3, s24
	v_cvt_f32_u32_e32 v7, s25
	s_sub_u32 s0, 0, s24
	s_subb_u32 s1, 0, s25
	v_mac_f32_e32 v3, 0x4f800000, v7
	v_rcp_f32_e32 v3, v3
	v_mul_f32_e32 v3, 0x5f7ffffc, v3
	v_mul_f32_e32 v7, 0x2f800000, v3
	v_trunc_f32_e32 v7, v7
	v_mac_f32_e32 v3, 0xcf800000, v7
	v_cvt_u32_f32_e32 v7, v7
	v_cvt_u32_f32_e32 v3, v3
	v_mul_lo_u32 v8, s0, v7
	v_mul_hi_u32 v11, s0, v3
	v_mul_lo_u32 v13, s1, v3
	v_mul_lo_u32 v12, s0, v3
	v_add_u32_e32 v8, v11, v8
	v_add_u32_e32 v8, v8, v13
	v_mul_hi_u32 v11, v3, v12
	v_mul_lo_u32 v13, v3, v8
	v_mul_hi_u32 v15, v3, v8
	v_mul_hi_u32 v14, v7, v12
	v_mul_lo_u32 v12, v7, v12
	v_mul_hi_u32 v16, v7, v8
	v_add_co_u32_e32 v11, vcc, v11, v13
	v_addc_co_u32_e32 v13, vcc, 0, v15, vcc
	v_mul_lo_u32 v8, v7, v8
	v_add_co_u32_e32 v11, vcc, v11, v12
	v_addc_co_u32_e32 v11, vcc, v13, v14, vcc
	v_addc_co_u32_e32 v12, vcc, 0, v16, vcc
	v_add_co_u32_e32 v8, vcc, v11, v8
	v_addc_co_u32_e32 v11, vcc, 0, v12, vcc
	v_add_co_u32_e32 v3, vcc, v3, v8
	v_addc_co_u32_e32 v7, vcc, v7, v11, vcc
	v_mul_lo_u32 v8, s0, v7
	v_mul_hi_u32 v11, s0, v3
	v_mul_lo_u32 v12, s1, v3
	v_mul_lo_u32 v13, s0, v3
	v_add_u32_e32 v8, v11, v8
	v_add_u32_e32 v8, v8, v12
	v_mul_lo_u32 v14, v3, v8
	v_mul_hi_u32 v15, v3, v13
	v_mul_hi_u32 v16, v3, v8
	v_mul_hi_u32 v12, v7, v13
	v_mul_lo_u32 v13, v7, v13
	v_mul_hi_u32 v11, v7, v8
	v_add_co_u32_e32 v14, vcc, v15, v14
	v_addc_co_u32_e32 v15, vcc, 0, v16, vcc
	v_mul_lo_u32 v8, v7, v8
	v_add_co_u32_e32 v13, vcc, v14, v13
	v_addc_co_u32_e32 v12, vcc, v15, v12, vcc
	v_addc_co_u32_e32 v11, vcc, 0, v11, vcc
	v_add_co_u32_e32 v8, vcc, v12, v8
	v_addc_co_u32_e32 v11, vcc, 0, v11, vcc
	v_add_co_u32_e32 v3, vcc, v3, v8
	v_addc_co_u32_e32 v11, vcc, v7, v11, vcc
	v_mad_u64_u32 v[7:8], s[0:1], v9, v11, 0
	v_mul_hi_u32 v12, v9, v3
	v_add_co_u32_e32 v13, vcc, v12, v7
	v_addc_co_u32_e32 v14, vcc, 0, v8, vcc
	v_mad_u64_u32 v[7:8], s[0:1], v10, v3, 0
	v_mad_u64_u32 v[11:12], s[0:1], v10, v11, 0
	v_add_co_u32_e32 v3, vcc, v13, v7
	v_addc_co_u32_e32 v3, vcc, v14, v8, vcc
	v_addc_co_u32_e32 v7, vcc, 0, v12, vcc
	v_add_co_u32_e32 v3, vcc, v3, v11
	v_addc_co_u32_e32 v11, vcc, 0, v7, vcc
	v_mul_lo_u32 v12, s25, v3
	v_mul_lo_u32 v13, s24, v11
	v_mad_u64_u32 v[7:8], s[0:1], s24, v3, 0
	v_add3_u32 v8, v8, v13, v12
	v_sub_u32_e32 v12, v10, v8
	v_mov_b32_e32 v13, s25
	v_sub_co_u32_e32 v7, vcc, v9, v7
	v_subb_co_u32_e64 v12, s[0:1], v12, v13, vcc
	v_subrev_co_u32_e64 v13, s[0:1], s24, v7
	v_subbrev_co_u32_e64 v12, s[0:1], 0, v12, s[0:1]
	v_cmp_le_u32_e64 s[0:1], s25, v12
	v_cndmask_b32_e64 v14, 0, -1, s[0:1]
	v_cmp_le_u32_e64 s[0:1], s24, v13
	v_cndmask_b32_e64 v13, 0, -1, s[0:1]
	v_cmp_eq_u32_e64 s[0:1], s25, v12
	v_cndmask_b32_e64 v12, v14, v13, s[0:1]
	v_add_co_u32_e64 v13, s[0:1], 2, v3
	v_addc_co_u32_e64 v14, s[0:1], 0, v11, s[0:1]
	v_add_co_u32_e64 v15, s[0:1], 1, v3
	v_addc_co_u32_e64 v16, s[0:1], 0, v11, s[0:1]
	v_subb_co_u32_e32 v8, vcc, v10, v8, vcc
	v_cmp_ne_u32_e64 s[0:1], 0, v12
	v_cmp_le_u32_e32 vcc, s25, v8
	v_cndmask_b32_e64 v12, v16, v14, s[0:1]
	v_cndmask_b32_e64 v14, 0, -1, vcc
	v_cmp_le_u32_e32 vcc, s24, v7
	v_cndmask_b32_e64 v7, 0, -1, vcc
	v_cmp_eq_u32_e32 vcc, s25, v8
	v_cndmask_b32_e32 v7, v14, v7, vcc
	v_cmp_ne_u32_e32 vcc, 0, v7
	v_cndmask_b32_e64 v7, v15, v13, s[0:1]
	v_cndmask_b32_e32 v8, v11, v12, vcc
	v_cndmask_b32_e32 v7, v3, v7, vcc
.LBB0_4:                                ;   in Loop: Header=BB0_2 Depth=1
	s_andn2_saveexec_b64 s[0:1], s[26:27]
	s_cbranch_execz .LBB0_6
; %bb.5:                                ;   in Loop: Header=BB0_2 Depth=1
	v_cvt_f32_u32_e32 v3, s24
	s_sub_i32 s26, 0, s24
	v_rcp_iflag_f32_e32 v3, v3
	v_mul_f32_e32 v3, 0x4f7ffffe, v3
	v_cvt_u32_f32_e32 v3, v3
	v_mul_lo_u32 v7, s26, v3
	v_mul_hi_u32 v7, v3, v7
	v_add_u32_e32 v3, v3, v7
	v_mul_hi_u32 v3, v9, v3
	v_mul_lo_u32 v7, v3, s24
	v_add_u32_e32 v8, 1, v3
	v_sub_u32_e32 v7, v9, v7
	v_subrev_u32_e32 v11, s24, v7
	v_cmp_le_u32_e32 vcc, s24, v7
	v_cndmask_b32_e32 v7, v7, v11, vcc
	v_cndmask_b32_e32 v3, v3, v8, vcc
	v_add_u32_e32 v8, 1, v3
	v_cmp_le_u32_e32 vcc, s24, v7
	v_cndmask_b32_e32 v7, v3, v8, vcc
	v_mov_b32_e32 v8, v6
.LBB0_6:                                ;   in Loop: Header=BB0_2 Depth=1
	s_or_b64 exec, exec, s[0:1]
	v_mul_lo_u32 v3, v8, s24
	v_mul_lo_u32 v13, v7, s25
	v_mad_u64_u32 v[11:12], s[0:1], v7, s24, 0
	s_load_dwordx2 s[0:1], s[6:7], 0x0
	s_load_dwordx2 s[24:25], s[2:3], 0x0
	v_add3_u32 v3, v12, v13, v3
	v_sub_co_u32_e32 v9, vcc, v9, v11
	v_subb_co_u32_e32 v3, vcc, v10, v3, vcc
	s_waitcnt lgkmcnt(0)
	v_mul_lo_u32 v10, s0, v3
	v_mul_lo_u32 v11, s1, v9
	v_mad_u64_u32 v[1:2], s[0:1], s0, v9, v[1:2]
	s_add_u32 s22, s22, 1
	s_addc_u32 s23, s23, 0
	s_add_u32 s2, s2, 8
	v_mul_lo_u32 v3, s24, v3
	v_mul_lo_u32 v12, s25, v9
	v_mad_u64_u32 v[4:5], s[0:1], s24, v9, v[4:5]
	v_add3_u32 v2, v11, v2, v10
	s_addc_u32 s3, s3, 0
	v_mov_b32_e32 v9, s14
	s_add_u32 s6, s6, 8
	v_mov_b32_e32 v10, s15
	s_addc_u32 s7, s7, 0
	v_cmp_ge_u64_e32 vcc, s[22:23], v[9:10]
	s_add_u32 s20, s20, 8
	v_add3_u32 v5, v12, v5, v3
	s_addc_u32 s21, s21, 0
	s_cbranch_vccnz .LBB0_9
; %bb.7:                                ;   in Loop: Header=BB0_2 Depth=1
	v_mov_b32_e32 v10, v8
	v_mov_b32_e32 v9, v7
	s_branch .LBB0_2
.LBB0_8:
	v_mov_b32_e32 v5, v2
	v_mov_b32_e32 v7, v9
	;; [unrolled: 1-line block ×4, first 2 shown]
.LBB0_9:
	s_load_dwordx2 s[0:1], s[4:5], 0x28
	s_lshl_b64 s[6:7], s[14:15], 3
	s_add_u32 s4, s18, s6
	s_addc_u32 s5, s19, s7
                                        ; implicit-def: $sgpr15
                                        ; implicit-def: $sgpr14
                                        ; implicit-def: $vgpr35
	s_waitcnt lgkmcnt(0)
	v_cmp_gt_u64_e32 vcc, s[0:1], v[7:8]
	v_cmp_le_u64_e64 s[0:1], s[0:1], v[7:8]
	s_and_saveexec_b64 s[2:3], s[0:1]
	s_xor_b64 s[0:1], exec, s[2:3]
; %bb.10:
	s_mov_b32 s2, 0x5555556
	v_mul_hi_u32 v1, v0, s2
	s_mov_b32 s14, 0
	s_mov_b32 s15, 0
	v_mul_u32_u24_e32 v1, 48, v1
	v_sub_u32_e32 v35, v0, v1
                                        ; implicit-def: $vgpr0
                                        ; implicit-def: $vgpr1_vgpr2
; %bb.11:
	s_or_saveexec_b64 s[2:3], s[0:1]
	s_load_dwordx2 s[4:5], s[4:5], 0x0
	v_mov_b32_e32 v23, s14
	v_mov_b32_e32 v6, s15
	;; [unrolled: 1-line block ×5, first 2 shown]
                                        ; implicit-def: $vgpr3
                                        ; implicit-def: $vgpr13
                                        ; implicit-def: $vgpr17
                                        ; implicit-def: $vgpr30
                                        ; implicit-def: $vgpr21
                                        ; implicit-def: $vgpr19
                                        ; implicit-def: $vgpr26
                                        ; implicit-def: $vgpr33
                                        ; implicit-def: $vgpr15
                                        ; implicit-def: $vgpr10
	s_xor_b64 exec, exec, s[2:3]
	s_cbranch_execz .LBB0_15
; %bb.12:
	s_add_u32 s0, s16, s6
	s_addc_u32 s1, s17, s7
	s_load_dwordx2 s[0:1], s[0:1], 0x0
	s_mov_b32 s6, 0x5555556
	v_mul_hi_u32 v3, v0, s6
	v_mov_b32_e32 v27, 0
	v_mov_b32_e32 v28, 0
	s_waitcnt lgkmcnt(0)
	v_mul_lo_u32 v6, s1, v7
	v_mul_lo_u32 v11, s0, v8
	v_mad_u64_u32 v[9:10], s[0:1], s0, v7, 0
	v_mul_u32_u24_e32 v3, 48, v3
	v_sub_u32_e32 v35, v0, v3
	v_add3_u32 v10, v10, v11, v6
	v_lshlrev_b64 v[9:10], 3, v[9:10]
	v_mov_b32_e32 v0, s9
	v_add_co_u32_e64 v3, s[0:1], s8, v9
	v_addc_co_u32_e64 v6, s[0:1], v0, v10, s[0:1]
	v_lshlrev_b64 v[0:1], 3, v[1:2]
	v_lshlrev_b32_e32 v2, 3, v35
	v_add_co_u32_e64 v0, s[0:1], v3, v0
	v_addc_co_u32_e64 v1, s[0:1], v6, v1, s[0:1]
	v_add_co_u32_e64 v0, s[0:1], v0, v2
	v_addc_co_u32_e64 v1, s[0:1], 0, v1, s[0:1]
	global_load_dwordx2 v[2:3], v[0:1], off
	global_load_dwordx2 v[16:17], v[0:1], off offset:2112
	global_load_dwordx2 v[18:19], v[0:1], off offset:1440
	;; [unrolled: 1-line block ×7, first 2 shown]
	v_cmp_gt_u32_e64 s[0:1], 36, v35
	v_mov_b32_e32 v22, 0
	v_mov_b32_e32 v23, 0
                                        ; implicit-def: $vgpr14
                                        ; implicit-def: $vgpr32
	s_and_saveexec_b64 s[6:7], s[0:1]
	s_cbranch_execz .LBB0_14
; %bb.13:
	global_load_dwordx2 v[22:23], v[0:1], off offset:768
	global_load_dwordx2 v[27:28], v[0:1], off offset:1824
	;; [unrolled: 1-line block ×4, first 2 shown]
.LBB0_14:
	s_or_b64 exec, exec, s[6:7]
	v_mov_b32_e32 v6, v35
.LBB0_15:
	s_or_b64 exec, exec, s[2:3]
	s_waitcnt vmcnt(6)
	v_sub_f32_e32 v1, v2, v16
	s_waitcnt vmcnt(1)
	v_sub_f32_e32 v0, v12, v29
	v_fma_f32 v16, v2, 2.0, -v1
	v_sub_f32_e32 v2, v13, v30
	v_fma_f32 v11, v12, 2.0, -v0
	v_sub_f32_e32 v11, v16, v11
	v_sub_f32_e32 v12, v1, v2
	v_fma_f32 v29, v16, 2.0, -v11
	v_fma_f32 v30, v1, 2.0, -v12
	v_lshl_add_u32 v1, v35, 4, 0
	ds_write2_b64 v1, v[29:30], v[11:12] offset1:1
	s_waitcnt vmcnt(0)
	v_sub_f32_e32 v12, v20, v25
	v_sub_f32_e32 v34, v18, v9
	;; [unrolled: 1-line block ×3, first 2 shown]
	v_fma_f32 v11, v20, 2.0, -v12
	v_fma_f32 v9, v18, 2.0, -v34
	v_sub_f32_e32 v9, v11, v9
	v_sub_f32_e32 v10, v12, v39
	v_add_u32_e32 v37, 48, v35
	v_fma_f32 v11, v11, 2.0, -v9
	v_fma_f32 v12, v12, 2.0, -v10
	v_lshl_add_u32 v20, v37, 4, 0
	ds_write2_b64 v20, v[11:12], v[9:10] offset1:1
	v_sub_f32_e32 v14, v27, v14
	v_sub_f32_e32 v11, v22, v32
	;; [unrolled: 1-line block ×3, first 2 shown]
	v_fma_f32 v12, v22, 2.0, -v11
	v_fma_f32 v9, v27, 2.0, -v14
	v_sub_f32_e32 v9, v12, v9
	v_sub_f32_e32 v10, v11, v18
	v_add_u32_e32 v38, 0x60, v35
	v_fma_f32 v15, v12, 2.0, -v9
	v_fma_f32 v16, v11, 2.0, -v10
	v_cmp_gt_u32_e64 s[0:1], 36, v35
	v_lshl_add_u32 v22, v38, 4, 0
	s_and_saveexec_b64 s[2:3], s[0:1]
	s_cbranch_execz .LBB0_17
; %bb.16:
	ds_write2_b64 v22, v[15:16], v[9:10] offset1:1
.LBB0_17:
	s_or_b64 exec, exec, s[2:3]
	v_mad_i32_i24 v11, v35, -12, v1
	v_add_u32_e32 v27, 0x400, v11
	s_waitcnt lgkmcnt(0)
	; wave barrier
	s_waitcnt lgkmcnt(0)
	ds_read2_b32 v[24:25], v11 offset1:48
	ds_read2_b32 v[31:32], v11 offset0:132 offset1:180
	ds_read2_b32 v[11:12], v27 offset0:8 offset1:56
	;; [unrolled: 1-line block ×3, first 2 shown]
	v_mul_i32_i24_e32 v27, -12, v35
	v_add_u32_e32 v36, v1, v27
	s_and_saveexec_b64 s[2:3], s[0:1]
	s_cbranch_execz .LBB0_19
; %bb.18:
	v_add_u32_e32 v9, 0x400, v36
	ds_read2_b32 v[15:16], v36 offset0:96 offset1:228
	ds_read2_b32 v[9:10], v9 offset0:104 offset1:236
.LBB0_19:
	s_or_b64 exec, exec, s[2:3]
	v_sub_f32_e32 v17, v3, v17
	v_fma_f32 v3, v3, 2.0, -v17
	v_fma_f32 v2, v13, 2.0, -v2
	v_sub_f32_e32 v2, v3, v2
	v_fma_f32 v40, v3, 2.0, -v2
	v_add_f32_e32 v3, v17, v0
	v_sub_f32_e32 v0, v21, v26
	v_fma_f32 v41, v17, 2.0, -v3
	v_fma_f32 v13, v21, 2.0, -v0
	;; [unrolled: 1-line block ×3, first 2 shown]
	v_add_f32_e32 v27, v0, v34
	v_sub_f32_e32 v26, v13, v17
	v_fma_f32 v43, v0, 2.0, -v27
	v_sub_f32_e32 v0, v23, v33
	v_fma_f32 v42, v13, 2.0, -v26
	v_fma_f32 v13, v23, 2.0, -v0
	;; [unrolled: 1-line block ×3, first 2 shown]
	v_sub_f32_e32 v17, v13, v17
	v_add_f32_e32 v18, v0, v14
	v_fma_f32 v13, v13, 2.0, -v17
	v_fma_f32 v14, v0, 2.0, -v18
	s_waitcnt lgkmcnt(0)
	; wave barrier
	s_waitcnt lgkmcnt(0)
	ds_write2_b64 v1, v[40:41], v[2:3] offset1:1
	ds_write2_b64 v20, v[42:43], v[26:27] offset1:1
	s_and_saveexec_b64 s[2:3], s[0:1]
	s_cbranch_execz .LBB0_21
; %bb.20:
	ds_write2_b64 v22, v[13:14], v[17:18] offset1:1
.LBB0_21:
	s_or_b64 exec, exec, s[2:3]
	v_add_u32_e32 v0, 0x400, v36
	s_waitcnt lgkmcnt(0)
	; wave barrier
	s_waitcnt lgkmcnt(0)
	ds_read2_b32 v[19:20], v36 offset1:48
	ds_read2_b32 v[33:34], v36 offset0:132 offset1:180
	ds_read2_b32 v[21:22], v0 offset0:8 offset1:56
	;; [unrolled: 1-line block ×3, first 2 shown]
	v_lshlrev_b32_e32 v23, 2, v35
	v_lshlrev_b32_e32 v28, 2, v37
	s_and_saveexec_b64 s[2:3], s[0:1]
	s_cbranch_execz .LBB0_23
; %bb.22:
	ds_read2_b32 v[13:14], v36 offset0:96 offset1:228
	ds_read2_b32 v[17:18], v0 offset0:104 offset1:236
.LBB0_23:
	s_or_b64 exec, exec, s[2:3]
	v_and_b32_e32 v39, 3, v35
	v_mul_u32_u24_e32 v0, 3, v39
	v_lshlrev_b32_e32 v40, 3, v0
	global_load_dwordx4 v[0:3], v40, s[12:13]
	global_load_dwordx2 v[45:46], v40, s[12:13] offset:16
	s_movk_i32 s2, 0xf0
	s_movk_i32 s3, 0x1f0
	v_and_or_b32 v23, v23, s2, v39
	v_and_or_b32 v28, v28, s3, v39
	v_lshl_add_u32 v41, v23, 2, 0
	v_lshl_add_u32 v40, v28, 2, 0
	s_waitcnt lgkmcnt(0)
	; wave barrier
	s_waitcnt vmcnt(1) lgkmcnt(0)
	v_mul_f32_e32 v23, v33, v1
	v_mul_f32_e32 v28, v34, v1
	s_waitcnt vmcnt(0)
	v_mul_f32_e32 v47, v26, v46
	v_mul_f32_e32 v48, v29, v46
	;; [unrolled: 1-line block ×13, first 2 shown]
	v_fma_f32 v1, v31, v0, -v23
	v_fma_f32 v23, v32, v0, -v28
	;; [unrolled: 1-line block ×3, first 2 shown]
	v_fmac_f32_e32 v46, v18, v45
	v_fma_f32 v18, v11, v2, -v51
	v_fmac_f32_e32 v44, v33, v0
	v_fmac_f32_e32 v42, v34, v0
	v_fma_f32 v29, v30, v45, -v49
	v_fmac_f32_e32 v48, v26, v45
	v_fmac_f32_e32 v50, v27, v45
	v_fma_f32 v26, v12, v2, -v53
	v_fma_f32 v27, v16, v0, -v54
	;; [unrolled: 1-line block ×3, first 2 shown]
	v_fmac_f32_e32 v43, v14, v0
	v_sub_f32_e32 v0, v24, v18
	v_sub_f32_e32 v33, v1, v28
	v_fma_f32 v10, v10, v45, -v52
	v_sub_f32_e32 v26, v25, v26
	v_sub_f32_e32 v31, v15, v16
	;; [unrolled: 1-line block ×4, first 2 shown]
	v_fma_f32 v24, v24, 2.0, -v0
	v_fma_f32 v1, v1, 2.0, -v33
	v_sub_f32_e32 v32, v42, v50
	v_sub_f32_e32 v10, v27, v10
	;; [unrolled: 1-line block ×3, first 2 shown]
	v_fma_f32 v25, v25, 2.0, -v26
	v_fma_f32 v14, v15, 2.0, -v31
	v_sub_f32_e32 v15, v0, v45
	v_fma_f32 v23, v23, 2.0, -v18
	v_sub_f32_e32 v29, v24, v1
	v_fma_f32 v27, v27, 2.0, -v10
	v_sub_f32_e32 v30, v31, v16
	v_sub_f32_e32 v28, v26, v32
	v_fma_f32 v34, v0, 2.0, -v15
	v_sub_f32_e32 v23, v25, v23
	ds_write2_b32 v41, v29, v15 offset0:8 offset1:12
	v_fma_f32 v15, v24, 2.0, -v29
	v_sub_f32_e32 v1, v14, v27
	v_fma_f32 v0, v31, 2.0, -v30
	v_fma_f32 v26, v26, 2.0, -v28
	;; [unrolled: 1-line block ×3, first 2 shown]
	ds_write2_b32 v41, v15, v34 offset1:4
	ds_write2_b32 v40, v24, v26 offset1:4
	ds_write2_b32 v40, v23, v28 offset0:8 offset1:12
	v_lshlrev_b32_e32 v34, 2, v38
	s_and_saveexec_b64 s[2:3], s[0:1]
	s_cbranch_execz .LBB0_25
; %bb.24:
	s_movk_i32 s6, 0x3f0
	v_and_or_b32 v15, v34, s6, v39
	v_fma_f32 v14, v14, 2.0, -v1
	v_lshl_add_u32 v15, v15, 2, 0
	ds_write2_b32 v15, v14, v0 offset1:4
	ds_write2_b32 v15, v1, v30 offset0:8 offset1:12
.LBB0_25:
	s_or_b64 exec, exec, s[2:3]
	v_add_u32_e32 v23, 0x400, v36
	v_lshl_add_u32 v29, v35, 2, 0
	s_waitcnt lgkmcnt(0)
	; wave barrier
	s_waitcnt lgkmcnt(0)
	ds_read2_b32 v[14:15], v36 offset1:48
	ds_read2_b32 v[27:28], v36 offset0:176 offset1:224
	ds_read2_b32 v[25:26], v23 offset0:16 offset1:96
	;; [unrolled: 1-line block ×3, first 2 shown]
	ds_read_b32 v31, v29 offset:384
	v_cmp_gt_u32_e64 s[2:3], 32, v35
	s_and_saveexec_b64 s[6:7], s[2:3]
	s_cbranch_execz .LBB0_27
; %bb.26:
	v_add_u32_e32 v0, 0x200, v29
	ds_read2_b32 v[0:1], v0 offset0:16 offset1:192
	ds_read_b32 v30, v36 offset:1984
.LBB0_27:
	s_or_b64 exec, exec, s[6:7]
	v_mul_f32_e32 v11, v11, v3
	v_fmac_f32_e32 v11, v21, v2
	v_mul_f32_e32 v12, v12, v3
	v_mul_f32_e32 v3, v9, v3
	v_fmac_f32_e32 v12, v22, v2
	v_fmac_f32_e32 v3, v17, v2
	v_sub_f32_e32 v2, v19, v11
	v_fma_f32 v9, v19, 2.0, -v2
	v_fma_f32 v11, v44, 2.0, -v45
	v_add_f32_e32 v19, v2, v33
	v_sub_f32_e32 v11, v9, v11
	v_fma_f32 v21, v2, 2.0, -v19
	v_sub_f32_e32 v2, v20, v12
	v_fma_f32 v17, v9, 2.0, -v11
	v_fma_f32 v9, v20, 2.0, -v2
	;; [unrolled: 1-line block ×3, first 2 shown]
	v_add_f32_e32 v18, v2, v18
	v_sub_f32_e32 v12, v9, v12
	v_fma_f32 v22, v2, 2.0, -v18
	v_sub_f32_e32 v2, v13, v3
	v_fma_f32 v20, v9, 2.0, -v12
	v_fma_f32 v9, v13, 2.0, -v2
	;; [unrolled: 1-line block ×3, first 2 shown]
	v_add_f32_e32 v13, v2, v10
	v_sub_f32_e32 v3, v9, v3
	v_fma_f32 v2, v2, 2.0, -v13
	s_waitcnt lgkmcnt(0)
	; wave barrier
	s_waitcnt lgkmcnt(0)
	ds_write2_b32 v41, v17, v21 offset1:4
	ds_write2_b32 v41, v11, v19 offset0:8 offset1:12
	ds_write2_b32 v40, v20, v22 offset1:4
	ds_write2_b32 v40, v12, v18 offset0:8 offset1:12
	s_and_saveexec_b64 s[6:7], s[0:1]
	s_cbranch_execz .LBB0_29
; %bb.28:
	s_movk_i32 s0, 0x3f0
	v_and_or_b32 v10, v34, s0, v39
	v_fma_f32 v9, v9, 2.0, -v3
	v_lshl_add_u32 v10, v10, 2, 0
	ds_write2_b32 v10, v9, v2 offset1:4
	ds_write2_b32 v10, v3, v13 offset0:8 offset1:12
.LBB0_29:
	s_or_b64 exec, exec, s[6:7]
	v_add_u32_e32 v11, 0x400, v36
	s_waitcnt lgkmcnt(0)
	; wave barrier
	s_waitcnt lgkmcnt(0)
	ds_read2_b32 v[9:10], v36 offset1:48
	ds_read2_b32 v[18:19], v36 offset0:176 offset1:224
	ds_read2_b32 v[16:17], v11 offset0:16 offset1:96
	;; [unrolled: 1-line block ×3, first 2 shown]
	ds_read_b32 v20, v29 offset:384
	s_and_saveexec_b64 s[0:1], s[2:3]
	s_cbranch_execz .LBB0_31
; %bb.30:
	v_add_u32_e32 v2, 0x200, v29
	ds_read2_b32 v[2:3], v2 offset0:16 offset1:192
	ds_read_b32 v13, v36 offset:1984
.LBB0_31:
	s_or_b64 exec, exec, s[0:1]
	v_and_b32_e32 v21, 15, v35
	v_lshlrev_b32_e32 v22, 4, v21
	global_load_dwordx4 v[45:48], v22, s[12:13] offset:96
	v_lshrrev_b32_e32 v22, 4, v35
	v_lshrrev_b32_e32 v33, 4, v38
	v_mul_u32_u24_e32 v22, 48, v22
	v_mul_u32_u24_e32 v33, 48, v33
	v_lshrrev_b32_e32 v32, 4, v37
	v_or_b32_e32 v22, v22, v21
	v_or_b32_e32 v34, v33, v21
	v_mul_u32_u24_e32 v32, 48, v32
	v_lshl_add_u32 v33, v22, 2, 0
	v_lshl_add_u32 v22, v34, 2, 0
	v_add_u32_e32 v49, 0x90, v35
	v_or_b32_e32 v32, v32, v21
	s_waitcnt lgkmcnt(0)
	; wave barrier
	s_waitcnt lgkmcnt(0)
	v_lshl_add_u32 v32, v32, 2, 0
	s_waitcnt vmcnt(0)
	v_mul_f32_e32 v44, v18, v46
	v_mul_f32_e32 v42, v27, v46
	v_mul_f32_e32 v50, v17, v48
	v_mul_f32_e32 v43, v26, v48
	v_mul_f32_e32 v51, v19, v46
	v_mul_f32_e32 v52, v11, v48
	v_mul_f32_e32 v41, v23, v48
	v_mul_f32_e32 v53, v16, v46
	v_mul_f32_e32 v38, v25, v46
	v_mul_f32_e32 v54, v12, v48
	v_mul_f32_e32 v39, v24, v48
	v_fma_f32 v44, v27, v45, -v44
	v_fma_f32 v27, v28, v45, -v51
	v_fmac_f32_e32 v42, v18, v45
	v_fma_f32 v18, v26, v47, -v50
	v_fmac_f32_e32 v43, v17, v47
	;; [unrolled: 2-line block ×4, first 2 shown]
	v_fma_f32 v16, v24, v47, -v54
	v_mul_f32_e32 v40, v28, v46
	v_mul_f32_e32 v37, v30, v48
	v_fmac_f32_e32 v39, v12, v47
	v_add_f32_e32 v12, v44, v18
	v_add_f32_e32 v24, v27, v17
	;; [unrolled: 1-line block ×3, first 2 shown]
	v_mul_f32_e32 v55, v3, v46
	v_mul_f32_e32 v34, v1, v46
	;; [unrolled: 1-line block ×3, first 2 shown]
	v_fmac_f32_e32 v40, v19, v45
	v_fmac_f32_e32 v37, v13, v47
	v_sub_f32_e32 v13, v42, v43
	v_add_f32_e32 v23, v15, v27
	v_add_f32_e32 v26, v31, v11
	v_fma_f32 v12, -0.5, v12, v14
	v_fmac_f32_e32 v15, -0.5, v24
	v_fmac_f32_e32 v31, -0.5, v28
	v_fma_f32 v19, v1, v45, -v55
	v_fmac_f32_e32 v34, v3, v45
	v_fma_f32 v3, v30, v47, -v46
	v_add_f32_e32 v1, v14, v44
	v_sub_f32_e32 v25, v40, v41
	v_sub_f32_e32 v30, v38, v39
	v_add_f32_e32 v14, v23, v17
	v_add_f32_e32 v23, v26, v16
	v_mov_b32_e32 v24, v12
	v_fmac_f32_e32 v12, 0xbf5db3d7, v13
	v_mov_b32_e32 v26, v15
	v_mov_b32_e32 v28, v31
	v_add_f32_e32 v1, v1, v18
	v_fmac_f32_e32 v15, 0xbf5db3d7, v25
	v_fmac_f32_e32 v31, 0xbf5db3d7, v30
	;; [unrolled: 1-line block ×5, first 2 shown]
	ds_write_b32 v33, v12 offset:128
	ds_write2_b32 v33, v1, v24 offset1:16
	ds_write2_b32 v32, v14, v26 offset1:16
	ds_write_b32 v32, v15 offset:128
	ds_write2_b32 v22, v23, v28 offset1:16
	ds_write_b32 v22, v31 offset:128
	v_lshrrev_b32_e32 v23, 4, v49
	s_and_saveexec_b64 s[0:1], s[2:3]
	s_cbranch_execz .LBB0_33
; %bb.32:
	v_mul_u32_u24_e32 v1, 48, v23
	v_add_f32_e32 v12, v19, v3
	v_or_b32_e32 v1, v1, v21
	v_fma_f32 v12, -0.5, v12, v0
	v_sub_f32_e32 v13, v34, v37
	v_add_f32_e32 v0, v0, v19
	v_lshl_add_u32 v1, v1, 2, 0
	v_mov_b32_e32 v14, v12
	v_fmac_f32_e32 v12, 0x3f5db3d7, v13
	v_add_f32_e32 v0, v0, v3
	v_fmac_f32_e32 v14, 0xbf5db3d7, v13
	ds_write2_b32 v1, v0, v12 offset1:16
	ds_write_b32 v1, v14 offset:128
.LBB0_33:
	s_or_b64 exec, exec, s[0:1]
	v_add_f32_e32 v0, v9, v42
	v_add_f32_e32 v24, v0, v43
	;; [unrolled: 1-line block ×3, first 2 shown]
	v_fma_f32 v25, -0.5, v0, v9
	v_sub_f32_e32 v0, v44, v18
	v_mov_b32_e32 v26, v25
	v_fmac_f32_e32 v26, 0xbf5db3d7, v0
	v_fmac_f32_e32 v25, 0x3f5db3d7, v0
	v_add_f32_e32 v0, v10, v40
	v_add_f32_e32 v28, v0, v41
	;; [unrolled: 1-line block ×3, first 2 shown]
	v_fmac_f32_e32 v10, -0.5, v0
	v_sub_f32_e32 v0, v27, v17
	v_mov_b32_e32 v27, v10
	v_fmac_f32_e32 v27, 0xbf5db3d7, v0
	v_fmac_f32_e32 v10, 0x3f5db3d7, v0
	v_add_f32_e32 v0, v20, v38
	v_add_f32_e32 v30, v0, v39
	v_add_f32_e32 v0, v38, v39
	v_fmac_f32_e32 v20, -0.5, v0
	v_sub_f32_e32 v0, v11, v16
	v_mov_b32_e32 v31, v20
	v_add_u32_e32 v9, 0x400, v36
	v_fmac_f32_e32 v31, 0xbf5db3d7, v0
	v_fmac_f32_e32 v20, 0x3f5db3d7, v0
	s_waitcnt lgkmcnt(0)
	; wave barrier
	s_waitcnt lgkmcnt(0)
	ds_read2_b32 v[0:1], v36 offset1:48
	ds_read2_b32 v[15:16], v29 offset0:96 offset1:144
	ds_read2_b32 v[11:12], v36 offset0:192 offset1:240
	;; [unrolled: 1-line block ×4, first 2 shown]
	ds_read_b32 v9, v36 offset:1920
	s_waitcnt lgkmcnt(0)
	; wave barrier
	s_waitcnt lgkmcnt(0)
	ds_write2_b32 v33, v24, v26 offset1:16
	ds_write_b32 v33, v25 offset:128
	ds_write2_b32 v32, v28, v27 offset1:16
	ds_write_b32 v32, v10 offset:128
	;; [unrolled: 2-line block ×3, first 2 shown]
	s_and_saveexec_b64 s[0:1], s[2:3]
	s_cbranch_execz .LBB0_35
; %bb.34:
	v_add_f32_e32 v20, v34, v37
	v_add_f32_e32 v10, v2, v34
	v_fmac_f32_e32 v2, -0.5, v20
	v_sub_f32_e32 v3, v19, v3
	v_mov_b32_e32 v19, v2
	v_fmac_f32_e32 v19, 0xbf5db3d7, v3
	v_fmac_f32_e32 v2, 0x3f5db3d7, v3
	v_mul_u32_u24_e32 v3, 48, v23
	v_or_b32_e32 v3, v3, v21
	v_add_f32_e32 v10, v10, v37
	v_lshl_add_u32 v3, v3, 2, 0
	ds_write2_b32 v3, v10, v19 offset1:16
	ds_write_b32 v3, v2 offset:128
.LBB0_35:
	s_or_b64 exec, exec, s[0:1]
	s_waitcnt lgkmcnt(0)
	; wave barrier
	s_waitcnt lgkmcnt(0)
	s_and_saveexec_b64 s[0:1], vcc
	s_cbranch_execz .LBB0_37
; %bb.36:
	v_mul_u32_u24_e32 v2, 10, v35
	v_lshlrev_b32_e32 v2, 3, v2
	global_load_dwordx4 v[19:22], v2, s[12:13] offset:416
	global_load_dwordx4 v[23:26], v2, s[12:13] offset:352
	;; [unrolled: 1-line block ×5, first 2 shown]
	v_mul_lo_u32 v10, s5, v7
	v_mul_lo_u32 v49, s4, v8
	v_mad_u64_u32 v[2:3], s[0:1], s4, v7, 0
	ds_read_b32 v50, v36 offset:1920
	ds_read2_b32 v[7:8], v36 offset1:48
	v_add_u32_e32 v47, 0x400, v36
	ds_read2_b32 v[27:28], v29 offset0:96 offset1:144
	ds_read2_b32 v[34:35], v36 offset0:192 offset1:240
	;; [unrolled: 1-line block ×4, first 2 shown]
	v_add3_u32 v3, v3, v49, v10
	s_mov_b32 s1, 0xbf75a155
	s_mov_b32 s0, 0x3f575c64
	;; [unrolled: 1-line block ×5, first 2 shown]
	v_lshlrev_b64 v[2:3], 3, v[2:3]
	s_waitcnt vmcnt(4)
	v_mul_f32_e32 v29, v9, v22
	s_waitcnt vmcnt(3)
	v_mul_f32_e32 v36, v1, v24
	v_mul_f32_e32 v49, v18, v20
	;; [unrolled: 1-line block ×3, first 2 shown]
	s_waitcnt vmcnt(0)
	v_mul_f32_e32 v56, v12, v42
	s_waitcnt lgkmcnt(4)
	v_fmac_f32_e32 v36, v8, v23
	v_fmac_f32_e32 v29, v50, v21
	v_mul_f32_e32 v10, v8, v24
	v_mul_f32_e32 v22, v50, v22
	s_waitcnt lgkmcnt(3)
	v_mul_f32_e32 v24, v27, v26
	v_mul_f32_e32 v26, v17, v33
	;; [unrolled: 1-line block ×6, first 2 shown]
	s_waitcnt lgkmcnt(2)
	v_mul_f32_e32 v42, v35, v42
	s_waitcnt lgkmcnt(0)
	v_mul_f32_e32 v44, v47, v44
	v_fmac_f32_e32 v51, v27, v25
	v_fmac_f32_e32 v49, v46, v19
	;; [unrolled: 1-line block ×3, first 2 shown]
	v_add_f32_e32 v35, v29, v36
	v_mul_f32_e32 v20, v46, v20
	v_mul_f32_e32 v40, v34, v40
	v_fma_f32 v1, v1, v23, -v10
	v_fma_f32 v50, v9, v21, -v22
	v_fmac_f32_e32 v26, v45, v32
	v_fmac_f32_e32 v52, v28, v37
	v_fma_f32 v28, v16, v37, -v38
	v_fmac_f32_e32 v54, v34, v39
	v_fma_f32 v34, v13, v43, -v44
	v_add_f32_e32 v37, v49, v51
	v_mul_f32_e32 v44, 0x3f575c64, v35
	v_mul_f32_e32 v33, v45, v33
	v_fma_f32 v57, v15, v25, -v24
	v_fma_f32 v46, v18, v19, -v20
	v_sub_f32_e32 v24, v1, v50
	v_add_f32_e32 v38, v26, v52
	v_sub_f32_e32 v18, v36, v29
	v_mul_f32_e32 v45, 0x3ed4b147, v37
	v_mov_b32_e32 v8, v44
	v_mul_f32_e32 v53, v14, v31
	v_mul_f32_e32 v31, v48, v31
	v_fma_f32 v32, v17, v32, -v33
	v_fmac_f32_e32 v55, v47, v43
	v_sub_f32_e32 v25, v57, v46
	v_mul_f32_e32 v47, 0xbe11bafb, v38
	v_mul_f32_e32 v59, 0xbf0a6770, v18
	v_mov_b32_e32 v9, v45
	v_fmac_f32_e32 v8, 0x3f0a6770, v24
	v_sub_f32_e32 v19, v51, v49
	v_fmac_f32_e32 v53, v48, v30
	v_fma_f32 v30, v14, v30, -v31
	v_fma_f32 v31, v12, v41, -v42
	v_sub_f32_e32 v27, v28, v32
	v_add_f32_e32 v43, v50, v1
	v_mov_b32_e32 v10, v47
	v_mov_b32_e32 v12, v59
	v_fmac_f32_e32 v9, 0x3f68dda4, v25
	v_add_f32_e32 v8, v7, v8
	v_mul_f32_e32 v61, 0xbf68dda4, v19
	v_sub_f32_e32 v20, v52, v26
	v_fmac_f32_e32 v10, 0x3f7d64f0, v27
	v_fmac_f32_e32 v12, 0x3f575c64, v43
	v_add_f32_e32 v8, v8, v9
	v_add_f32_e32 v60, v46, v57
	v_mov_b32_e32 v9, v61
	v_mul_f32_e32 v63, 0xbf7d64f0, v20
	v_add_f32_e32 v12, v0, v12
	v_add_f32_e32 v8, v8, v10
	v_fmac_f32_e32 v9, 0x3ed4b147, v60
	v_add_f32_e32 v62, v32, v28
	v_mov_b32_e32 v10, v63
	v_sub_f32_e32 v21, v54, v53
	v_fma_f32 v33, v11, v39, -v40
	v_add_f32_e32 v39, v53, v54
	v_add_f32_e32 v9, v12, v9
	v_fmac_f32_e32 v10, 0xbe11bafb, v62
	v_mul_f32_e32 v65, 0xbf4178ce, v21
	v_add_f32_e32 v41, v55, v56
	v_mul_f32_e32 v48, 0xbf27a4f4, v39
	v_add_f32_e32 v9, v9, v10
	v_add_f32_e32 v64, v30, v33
	v_mov_b32_e32 v10, v65
	v_sub_f32_e32 v40, v33, v30
	v_mul_f32_e32 v58, 0xbf75a155, v41
	v_mov_b32_e32 v11, v48
	v_fmac_f32_e32 v10, 0xbf27a4f4, v64
	v_sub_f32_e32 v42, v31, v34
	v_fmac_f32_e32 v11, 0x3f4178ce, v40
	v_add_f32_e32 v10, v9, v10
	v_mov_b32_e32 v9, v58
	v_sub_f32_e32 v22, v56, v55
	v_add_f32_e32 v8, v8, v11
	v_fmac_f32_e32 v9, 0x3e903f40, v42
	v_mul_f32_e32 v67, 0xbe903f40, v22
	v_add_f32_e32 v9, v8, v9
	v_add_f32_e32 v66, v34, v31
	v_mov_b32_e32 v8, v67
	v_fmac_f32_e32 v8, 0xbf75a155, v66
	v_mul_f32_e32 v23, 0x3ed4b147, v35
	v_add_f32_e32 v8, v10, v8
	v_mov_b32_e32 v10, v23
	v_mul_f32_e32 v68, 0xbf27a4f4, v37
	v_fmac_f32_e32 v10, 0x3f68dda4, v24
	v_mov_b32_e32 v11, v68
	v_add_f32_e32 v10, v7, v10
	v_fmac_f32_e32 v11, 0x3f4178ce, v25
	v_mul_f32_e32 v69, 0xbf75a155, v38
	v_add_f32_e32 v10, v10, v11
	v_mov_b32_e32 v11, v69
	v_fmac_f32_e32 v11, 0xbe903f40, v27
	v_mul_f32_e32 v70, 0xbe11bafb, v39
	v_add_f32_e32 v10, v10, v11
	v_mov_b32_e32 v11, v70
	;; [unrolled: 4-line block ×3, first 2 shown]
	v_mul_f32_e32 v72, 0xbf4178ce, v19
	v_fmac_f32_e32 v11, 0x3ed4b147, v43
	v_mov_b32_e32 v12, v72
	v_add_f32_e32 v11, v0, v11
	v_fmac_f32_e32 v12, 0xbf27a4f4, v60
	v_mul_f32_e32 v73, 0x3e903f40, v20
	v_add_f32_e32 v11, v11, v12
	v_mov_b32_e32 v12, v73
	v_fmac_f32_e32 v12, 0xbf75a155, v62
	v_mul_f32_e32 v74, 0x3f7d64f0, v21
	v_add_f32_e32 v11, v11, v12
	v_mov_b32_e32 v12, v74
	;; [unrolled: 4-line block ×5, first 2 shown]
	v_mul_f32_e32 v78, 0xbf75a155, v37
	v_fmac_f32_e32 v12, 0x3f7d64f0, v24
	v_mov_b32_e32 v13, v78
	v_add_f32_e32 v12, v7, v12
	v_fmac_f32_e32 v13, 0xbe903f40, v25
	v_mul_f32_e32 v79, 0x3ed4b147, v38
	v_add_f32_e32 v12, v12, v13
	v_mov_b32_e32 v13, v79
	v_fmac_f32_e32 v13, 0xbf68dda4, v27
	v_mul_f32_e32 v80, 0x3f575c64, v39
	v_add_f32_e32 v12, v12, v13
	v_mov_b32_e32 v13, v80
	;; [unrolled: 4-line block ×3, first 2 shown]
	v_mul_f32_e32 v82, 0x3e903f40, v19
	v_fmac_f32_e32 v13, 0xbe11bafb, v43
	v_mov_b32_e32 v14, v82
	v_add_f32_e32 v13, v0, v13
	v_fmac_f32_e32 v14, 0xbf75a155, v60
	v_mul_f32_e32 v83, 0x3f68dda4, v20
	v_add_f32_e32 v13, v13, v14
	v_mov_b32_e32 v14, v83
	v_fmac_f32_e32 v14, 0x3ed4b147, v62
	v_mul_f32_e32 v84, 0xbf0a6770, v21
	v_add_f32_e32 v13, v13, v14
	v_mov_b32_e32 v14, v84
	;; [unrolled: 4-line block ×5, first 2 shown]
	v_mul_f32_e32 v17, 0x3f575c64, v37
	v_fmac_f32_e32 v14, 0x3e903f40, v24
	v_mov_b32_e32 v15, v17
	v_add_f32_e32 v14, v7, v14
	v_fmac_f32_e32 v15, 0xbf0a6770, v25
	v_mul_f32_e32 v87, 0xbf27a4f4, v38
	v_add_f32_e32 v14, v14, v15
	v_mov_b32_e32 v15, v87
	v_fmac_f32_e32 v15, 0x3f4178ce, v27
	v_mul_f32_e32 v88, 0x3ed4b147, v39
	v_add_f32_e32 v14, v14, v15
	v_mov_b32_e32 v15, v88
	v_fmac_f32_e32 v15, 0xbf68dda4, v40
	v_mul_f32_e32 v89, 0xbe903f40, v18
	v_add_f32_e32 v14, v14, v15
	v_mov_b32_e32 v15, v89
	v_mul_f32_e32 v90, 0x3f0a6770, v19
	v_fmac_f32_e32 v15, 0xbf75a155, v43
	v_mov_b32_e32 v91, v90
	v_add_f32_e32 v15, v0, v15
	v_fmac_f32_e32 v91, 0x3f575c64, v60
	v_add_f32_e32 v15, v15, v91
	v_mul_f32_e32 v91, 0xbf4178ce, v20
	v_mov_b32_e32 v92, v91
	v_fmac_f32_e32 v16, 0xbe903f40, v24
	v_fmac_f32_e32 v92, 0xbf27a4f4, v62
	v_add_f32_e32 v16, v7, v16
	v_fmac_f32_e32 v17, 0x3f0a6770, v25
	v_add_f32_e32 v15, v15, v92
	v_mul_f32_e32 v92, 0x3f68dda4, v21
	v_add_f32_e32 v16, v16, v17
	v_fmac_f32_e32 v87, 0xbf4178ce, v27
	v_fma_f32 v17, v43, s1, -v89
	v_mov_b32_e32 v93, v92
	v_add_f32_e32 v16, v16, v87
	v_add_f32_e32 v17, v0, v17
	v_fma_f32 v87, v60, s0, -v90
	v_fmac_f32_e32 v93, 0x3ed4b147, v64
	v_mul_f32_e32 v94, 0xbe11bafb, v41
	v_fmac_f32_e32 v88, 0x3f68dda4, v40
	v_add_f32_e32 v17, v17, v87
	v_fma_f32 v87, v62, s2, -v91
	v_add_f32_e32 v93, v15, v93
	v_mov_b32_e32 v15, v94
	v_mul_f32_e32 v95, 0xbf7d64f0, v22
	v_add_f32_e32 v16, v16, v88
	v_add_f32_e32 v17, v17, v87
	v_fma_f32 v87, v64, s3, -v92
	v_fmac_f32_e32 v94, 0xbf7d64f0, v42
	v_add_f32_e32 v87, v17, v87
	v_add_f32_e32 v17, v16, v94
	v_fma_f32 v16, v66, s4, -v95
	v_add_f32_e32 v16, v87, v16
	v_mul_f32_e32 v87, 0xbf4178ce, v24
	v_mov_b32_e32 v88, v87
	v_mul_f32_e32 v89, 0x3f7d64f0, v25
	v_fmac_f32_e32 v88, 0xbf27a4f4, v35
	v_mov_b32_e32 v90, v89
	v_add_f32_e32 v88, v7, v88
	v_fmac_f32_e32 v90, 0xbe11bafb, v37
	v_add_f32_e32 v88, v88, v90
	v_mul_f32_e32 v90, 0xbf0a6770, v27
	v_mov_b32_e32 v91, v90
	v_fmac_f32_e32 v91, 0x3f575c64, v38
	v_add_f32_e32 v88, v88, v91
	v_mul_f32_e32 v91, 0xbe903f40, v40
	v_fmac_f32_e32 v15, 0x3f7d64f0, v42
	v_mov_b32_e32 v92, v91
	v_fmac_f32_e32 v44, 0xbf0a6770, v24
	v_add_f32_e32 v15, v14, v15
	v_mov_b32_e32 v14, v95
	v_fmac_f32_e32 v92, 0xbf75a155, v39
	v_fmac_f32_e32 v77, 0xbf7d64f0, v24
	;; [unrolled: 1-line block ×6, first 2 shown]
	v_add_f32_e32 v24, v7, v44
	v_fma_f32 v25, v43, s0, -v59
	v_fmac_f32_e32 v14, 0xbe11bafb, v66
	v_add_f32_e32 v88, v88, v92
	v_mul_f32_e32 v92, 0xbf4178ce, v18
	v_fmac_f32_e32 v79, 0x3f68dda4, v27
	v_fmac_f32_e32 v69, 0x3e903f40, v27
	v_add_f32_e32 v24, v24, v45
	v_fmac_f32_e32 v47, 0xbf7d64f0, v27
	v_add_f32_e32 v25, v0, v25
	v_fma_f32 v27, v60, s3, -v61
	v_add_f32_e32 v14, v93, v14
	v_fma_f32 v18, v43, s2, -v92
	v_mul_f32_e32 v93, 0x3f7d64f0, v19
	v_add_f32_e32 v24, v24, v47
	v_fmac_f32_e32 v48, 0xbf4178ce, v40
	v_add_f32_e32 v25, v25, v27
	v_fma_f32 v27, v62, s4, -v63
	v_add_f32_e32 v18, v0, v18
	v_fma_f32 v19, v60, s4, -v93
	v_mul_f32_e32 v94, 0xbf0a6770, v20
	v_add_f32_e32 v24, v24, v48
	v_fmac_f32_e32 v58, 0xbe903f40, v42
	v_add_f32_e32 v25, v25, v27
	v_fma_f32 v27, v64, s2, -v65
	v_add_f32_e32 v18, v18, v19
	v_fma_f32 v19, v62, s0, -v94
	v_mul_f32_e32 v95, 0xbe903f40, v21
	v_add_f32_e32 v27, v25, v27
	v_add_f32_e32 v25, v24, v58
	v_fma_f32 v24, v66, s1, -v67
	v_add_f32_e32 v18, v18, v19
	v_fma_f32 v19, v64, s1, -v95
	v_mul_f32_e32 v96, 0x3f68dda4, v42
	v_add_f32_e32 v24, v27, v24
	v_add_f32_e32 v27, v7, v36
	;; [unrolled: 1-line block ×4, first 2 shown]
	v_mov_b32_e32 v19, v96
	v_add_f32_e32 v27, v27, v51
	v_add_f32_e32 v1, v1, v57
	v_fmac_f32_e32 v19, 0x3ed4b147, v41
	v_add_f32_e32 v27, v27, v52
	v_add_f32_e32 v1, v1, v28
	;; [unrolled: 1-line block ×3, first 2 shown]
	v_mul_f32_e32 v88, 0x3f68dda4, v22
	v_add_f32_e32 v27, v27, v54
	v_add_f32_e32 v1, v1, v33
	v_fma_f32 v20, v66, s3, -v88
	v_add_f32_e32 v27, v27, v56
	v_add_f32_e32 v1, v1, v31
	v_add_f32_e32 v18, v18, v20
	v_add_f32_e32 v20, v7, v77
	v_fma_f32 v21, v43, s4, -v81
	v_add_f32_e32 v27, v55, v27
	v_add_f32_e32 v1, v34, v1
	;; [unrolled: 5-line block ×3, first 2 shown]
	v_add_f32_e32 v20, v20, v79
	v_fmac_f32_e32 v80, 0xbf0a6770, v40
	v_add_f32_e32 v21, v21, v22
	v_fma_f32 v22, v62, s3, -v83
	v_add_f32_e32 v26, v26, v27
	v_add_f32_e32 v1, v32, v1
	;; [unrolled: 1-line block ×4, first 2 shown]
	v_fma_f32 v22, v64, s0, -v84
	v_fmac_f32_e32 v85, 0xbf4178ce, v42
	v_add_f32_e32 v26, v49, v26
	v_add_f32_e32 v1, v46, v1
	;; [unrolled: 1-line block ×4, first 2 shown]
	v_fma_f32 v20, v66, s2, -v86
	v_add_f32_e32 v27, v29, v26
	v_add_f32_e32 v26, v50, v1
	v_fma_f32 v1, v35, s2, -v87
	v_add_f32_e32 v20, v22, v20
	v_add_f32_e32 v22, v7, v23
	;; [unrolled: 1-line block ×3, first 2 shown]
	v_fma_f32 v7, v37, s4, -v89
	v_add_f32_e32 v1, v1, v7
	v_fma_f32 v7, v38, s0, -v90
	v_mov_b32_e32 v28, s11
	v_add_co_u32_e32 v29, vcc, s10, v2
	v_add_f32_e32 v1, v1, v7
	v_fma_f32 v7, v39, s1, -v91
	v_addc_co_u32_e32 v28, vcc, v28, v3, vcc
	v_lshlrev_b64 v[2:3], 3, v[4:5]
	v_add_f32_e32 v1, v1, v7
	v_fma_f32 v7, v41, s3, -v96
	v_fma_f32 v23, v43, s3, -v71
	v_add_f32_e32 v1, v1, v7
	v_fmac_f32_e32 v92, 0xbf27a4f4, v43
	v_mov_b32_e32 v7, 0
	v_add_co_u32_e32 v4, vcc, v29, v2
	v_add_f32_e32 v22, v22, v68
	v_add_f32_e32 v23, v0, v23
	v_fma_f32 v68, v60, s2, -v72
	v_add_f32_e32 v0, v0, v92
	v_fmac_f32_e32 v93, 0xbe11bafb, v60
	v_addc_co_u32_e32 v5, vcc, v28, v3, vcc
	v_lshlrev_b64 v[2:3], 3, v[6:7]
	v_add_f32_e32 v22, v22, v69
	v_fmac_f32_e32 v70, 0x3f7d64f0, v40
	v_add_f32_e32 v23, v23, v68
	v_fma_f32 v68, v62, s1, -v73
	v_add_f32_e32 v0, v0, v93
	v_fmac_f32_e32 v94, 0x3f575c64, v62
	v_add_f32_e32 v22, v22, v70
	v_add_f32_e32 v23, v23, v68
	v_fma_f32 v68, v64, s4, -v74
	v_fmac_f32_e32 v75, 0x3f0a6770, v42
	v_add_f32_e32 v0, v0, v94
	v_fmac_f32_e32 v95, 0xbf75a155, v64
	v_add_co_u32_e32 v2, vcc, v4, v2
	v_add_f32_e32 v68, v23, v68
	v_add_f32_e32 v23, v22, v75
	v_fma_f32 v22, v66, s0, -v76
	v_add_f32_e32 v0, v0, v95
	v_fmac_f32_e32 v88, 0x3ed4b147, v66
	v_addc_co_u32_e32 v3, vcc, v5, v3, vcc
	v_add_f32_e32 v22, v68, v22
	v_add_f32_e32 v0, v0, v88
	global_store_dwordx2 v[2:3], v[26:27], off
	global_store_dwordx2 v[2:3], v[24:25], off offset:384
	global_store_dwordx2 v[2:3], v[22:23], off offset:768
	;; [unrolled: 1-line block ×10, first 2 shown]
.LBB0_37:
	s_endpgm
	.section	.rodata,"a",@progbits
	.p2align	6, 0x0
	.amdhsa_kernel fft_rtc_fwd_len528_factors_4_4_3_11_wgs_48_tpt_48_halfLds_sp_op_CI_CI_unitstride_sbrr_dirReg
		.amdhsa_group_segment_fixed_size 0
		.amdhsa_private_segment_fixed_size 0
		.amdhsa_kernarg_size 104
		.amdhsa_user_sgpr_count 6
		.amdhsa_user_sgpr_private_segment_buffer 1
		.amdhsa_user_sgpr_dispatch_ptr 0
		.amdhsa_user_sgpr_queue_ptr 0
		.amdhsa_user_sgpr_kernarg_segment_ptr 1
		.amdhsa_user_sgpr_dispatch_id 0
		.amdhsa_user_sgpr_flat_scratch_init 0
		.amdhsa_user_sgpr_private_segment_size 0
		.amdhsa_uses_dynamic_stack 0
		.amdhsa_system_sgpr_private_segment_wavefront_offset 0
		.amdhsa_system_sgpr_workgroup_id_x 1
		.amdhsa_system_sgpr_workgroup_id_y 0
		.amdhsa_system_sgpr_workgroup_id_z 0
		.amdhsa_system_sgpr_workgroup_info 0
		.amdhsa_system_vgpr_workitem_id 0
		.amdhsa_next_free_vgpr 97
		.amdhsa_next_free_sgpr 28
		.amdhsa_reserve_vcc 1
		.amdhsa_reserve_flat_scratch 0
		.amdhsa_float_round_mode_32 0
		.amdhsa_float_round_mode_16_64 0
		.amdhsa_float_denorm_mode_32 3
		.amdhsa_float_denorm_mode_16_64 3
		.amdhsa_dx10_clamp 1
		.amdhsa_ieee_mode 1
		.amdhsa_fp16_overflow 0
		.amdhsa_exception_fp_ieee_invalid_op 0
		.amdhsa_exception_fp_denorm_src 0
		.amdhsa_exception_fp_ieee_div_zero 0
		.amdhsa_exception_fp_ieee_overflow 0
		.amdhsa_exception_fp_ieee_underflow 0
		.amdhsa_exception_fp_ieee_inexact 0
		.amdhsa_exception_int_div_zero 0
	.end_amdhsa_kernel
	.text
.Lfunc_end0:
	.size	fft_rtc_fwd_len528_factors_4_4_3_11_wgs_48_tpt_48_halfLds_sp_op_CI_CI_unitstride_sbrr_dirReg, .Lfunc_end0-fft_rtc_fwd_len528_factors_4_4_3_11_wgs_48_tpt_48_halfLds_sp_op_CI_CI_unitstride_sbrr_dirReg
                                        ; -- End function
	.section	.AMDGPU.csdata,"",@progbits
; Kernel info:
; codeLenInByte = 6372
; NumSgprs: 32
; NumVgprs: 97
; ScratchSize: 0
; MemoryBound: 0
; FloatMode: 240
; IeeeMode: 1
; LDSByteSize: 0 bytes/workgroup (compile time only)
; SGPRBlocks: 3
; VGPRBlocks: 24
; NumSGPRsForWavesPerEU: 32
; NumVGPRsForWavesPerEU: 97
; Occupancy: 2
; WaveLimiterHint : 1
; COMPUTE_PGM_RSRC2:SCRATCH_EN: 0
; COMPUTE_PGM_RSRC2:USER_SGPR: 6
; COMPUTE_PGM_RSRC2:TRAP_HANDLER: 0
; COMPUTE_PGM_RSRC2:TGID_X_EN: 1
; COMPUTE_PGM_RSRC2:TGID_Y_EN: 0
; COMPUTE_PGM_RSRC2:TGID_Z_EN: 0
; COMPUTE_PGM_RSRC2:TIDIG_COMP_CNT: 0
	.type	__hip_cuid_b3aedf6d0fb2e151,@object ; @__hip_cuid_b3aedf6d0fb2e151
	.section	.bss,"aw",@nobits
	.globl	__hip_cuid_b3aedf6d0fb2e151
__hip_cuid_b3aedf6d0fb2e151:
	.byte	0                               ; 0x0
	.size	__hip_cuid_b3aedf6d0fb2e151, 1

	.ident	"AMD clang version 19.0.0git (https://github.com/RadeonOpenCompute/llvm-project roc-6.4.0 25133 c7fe45cf4b819c5991fe208aaa96edf142730f1d)"
	.section	".note.GNU-stack","",@progbits
	.addrsig
	.addrsig_sym __hip_cuid_b3aedf6d0fb2e151
	.amdgpu_metadata
---
amdhsa.kernels:
  - .args:
      - .actual_access:  read_only
        .address_space:  global
        .offset:         0
        .size:           8
        .value_kind:     global_buffer
      - .offset:         8
        .size:           8
        .value_kind:     by_value
      - .actual_access:  read_only
        .address_space:  global
        .offset:         16
        .size:           8
        .value_kind:     global_buffer
      - .actual_access:  read_only
        .address_space:  global
        .offset:         24
        .size:           8
        .value_kind:     global_buffer
      - .actual_access:  read_only
        .address_space:  global
        .offset:         32
        .size:           8
        .value_kind:     global_buffer
      - .offset:         40
        .size:           8
        .value_kind:     by_value
      - .actual_access:  read_only
        .address_space:  global
        .offset:         48
        .size:           8
        .value_kind:     global_buffer
      - .actual_access:  read_only
        .address_space:  global
        .offset:         56
        .size:           8
        .value_kind:     global_buffer
      - .offset:         64
        .size:           4
        .value_kind:     by_value
      - .actual_access:  read_only
        .address_space:  global
        .offset:         72
        .size:           8
        .value_kind:     global_buffer
      - .actual_access:  read_only
        .address_space:  global
        .offset:         80
        .size:           8
        .value_kind:     global_buffer
      - .actual_access:  read_only
        .address_space:  global
        .offset:         88
        .size:           8
        .value_kind:     global_buffer
      - .actual_access:  write_only
        .address_space:  global
        .offset:         96
        .size:           8
        .value_kind:     global_buffer
    .group_segment_fixed_size: 0
    .kernarg_segment_align: 8
    .kernarg_segment_size: 104
    .language:       OpenCL C
    .language_version:
      - 2
      - 0
    .max_flat_workgroup_size: 48
    .name:           fft_rtc_fwd_len528_factors_4_4_3_11_wgs_48_tpt_48_halfLds_sp_op_CI_CI_unitstride_sbrr_dirReg
    .private_segment_fixed_size: 0
    .sgpr_count:     32
    .sgpr_spill_count: 0
    .symbol:         fft_rtc_fwd_len528_factors_4_4_3_11_wgs_48_tpt_48_halfLds_sp_op_CI_CI_unitstride_sbrr_dirReg.kd
    .uniform_work_group_size: 1
    .uses_dynamic_stack: false
    .vgpr_count:     97
    .vgpr_spill_count: 0
    .wavefront_size: 64
amdhsa.target:   amdgcn-amd-amdhsa--gfx906
amdhsa.version:
  - 1
  - 2
...

	.end_amdgpu_metadata
